;; amdgpu-corpus repo=ROCm/rocFFT kind=compiled arch=gfx950 opt=O3
	.text
	.amdgcn_target "amdgcn-amd-amdhsa--gfx950"
	.amdhsa_code_object_version 6
	.protected	bluestein_single_fwd_len80_dim1_sp_op_CI_CI ; -- Begin function bluestein_single_fwd_len80_dim1_sp_op_CI_CI
	.globl	bluestein_single_fwd_len80_dim1_sp_op_CI_CI
	.p2align	8
	.type	bluestein_single_fwd_len80_dim1_sp_op_CI_CI,@function
bluestein_single_fwd_len80_dim1_sp_op_CI_CI: ; @bluestein_single_fwd_len80_dim1_sp_op_CI_CI
; %bb.0:
	s_load_dwordx4 s[12:15], s[0:1], 0x28
	v_mul_u32_u24_e32 v1, 0x199a, v0
	v_lshrrev_b32_e32 v2, 16, v1
	v_mad_u64_u32 v[32:33], s[2:3], s2, 6, v[2:3]
	v_mov_b32_e32 v31, 0
	v_mov_b32_e32 v33, v31
	s_waitcnt lgkmcnt(0)
	v_cmp_gt_u64_e32 vcc, s[12:13], v[32:33]
	s_and_saveexec_b64 s[2:3], vcc
	s_cbranch_execz .LBB0_15
; %bb.1:
	s_load_dwordx4 s[4:7], s[0:1], 0x18
	s_load_dwordx2 s[12:13], s[0:1], 0x0
	v_mul_lo_u16_e32 v1, 10, v2
	v_sub_u16_e32 v30, v0, v1
	v_or_b32_e32 v78, 16, v30
	s_waitcnt lgkmcnt(0)
	s_load_dwordx4 s[8:11], s[4:5], 0x0
	v_or_b32_e32 v76, 32, v30
	v_or_b32_e32 v63, 48, v30
	v_mov_b32_e32 v4, s14
	v_mov_b32_e32 v5, s15
	s_waitcnt lgkmcnt(0)
	v_mad_u64_u32 v[0:1], s[2:3], s10, v32, 0
	v_mov_b32_e32 v2, v1
	v_mad_u64_u32 v[2:3], s[2:3], s11, v32, v[2:3]
	v_mov_b32_e32 v1, v2
	;; [unrolled: 2-line block ×9, first 2 shown]
	v_lshl_add_u64 v[0:1], v[0:1], 3, v[4:5]
	v_mad_u64_u32 v[12:13], s[2:3], s9, v63, v[12:13]
	v_lshl_add_u64 v[2:3], v[2:3], 3, v[0:1]
	v_mov_b32_e32 v11, v12
	v_or_b32_e32 v77, 64, v30
	v_lshlrev_b32_e32 v4, 3, v30
	v_lshl_add_u64 v[6:7], v[6:7], 3, v[0:1]
	v_lshl_add_u64 v[8:9], v[8:9], 3, v[0:1]
	;; [unrolled: 1-line block ×3, first 2 shown]
	global_load_dwordx2 v[12:13], v[2:3], off
	global_load_dwordx2 v[14:15], v[6:7], off
	;; [unrolled: 1-line block ×4, first 2 shown]
	global_load_dwordx2 v[42:43], v4, s[12:13]
	global_load_dwordx2 v[40:41], v4, s[12:13] offset:128
	global_load_dwordx2 v[38:39], v4, s[12:13] offset:256
	;; [unrolled: 1-line block ×3, first 2 shown]
	v_mad_u64_u32 v[2:3], s[2:3], s8, v77, 0
	v_mov_b32_e32 v6, v3
	v_mad_u64_u32 v[6:7], s[2:3], s9, v77, v[6:7]
	v_mov_b32_e32 v3, v6
	v_lshl_add_u64 v[2:3], v[2:3], 3, v[0:1]
	global_load_dwordx2 v[36:37], v4, s[12:13] offset:512
	global_load_dwordx2 v[6:7], v[2:3], off
	s_mov_b32 s4, 0xaaaaaaab
	v_mul_hi_u32 v2, v32, s4
	v_lshrrev_b32_e32 v2, 2, v2
	v_mul_lo_u32 v2, v2, 6
	v_sub_u32_e32 v2, v32, v2
	s_load_dwordx2 s[2:3], s[0:1], 0x38
	v_mul_u32_u24_e32 v80, 0x50, v2
	s_load_dwordx4 s[4:7], s[6:7], 0x0
	v_or_b32_e32 v2, v80, v30
	v_mov_b32_e32 v5, v31
	v_lshlrev_b32_e32 v79, 3, v2
	v_lshl_add_u64 v[28:29], s[12:13], 0, v[4:5]
	v_lshl_add_u32 v33, v80, 3, v4
	v_cmp_gt_u16_e32 vcc, 6, v30
	s_waitcnt vmcnt(5)
	v_mul_f32_e32 v2, v13, v43
	v_mul_f32_e32 v3, v12, v43
	s_waitcnt vmcnt(4)
	v_mul_f32_e32 v4, v15, v41
	v_mul_f32_e32 v5, v14, v41
	;; [unrolled: 3-line block ×4, first 2 shown]
	v_fmac_f32_e32 v2, v12, v42
	v_fma_f32 v3, v13, v42, -v3
	v_fmac_f32_e32 v4, v14, v40
	s_waitcnt vmcnt(0)
	v_mul_f32_e32 v20, v7, v37
	v_mul_f32_e32 v21, v6, v37
	v_fmac_f32_e32 v20, v6, v36
	v_fma_f32 v21, v7, v36, -v21
	v_fma_f32 v5, v15, v40, -v5
	v_fmac_f32_e32 v8, v16, v38
	v_fma_f32 v9, v17, v38, -v9
	v_fmac_f32_e32 v10, v18, v34
	v_fma_f32 v11, v19, v34, -v11
	ds_write_b64 v79, v[2:3]
	ds_write2_b64 v33, v[4:5], v[8:9] offset0:16 offset1:32
	ds_write2_b64 v33, v[10:11], v[20:21] offset0:48 offset1:64
	v_lshl_add_u64 v[20:21], v[30:31], 0, 10
	s_and_saveexec_b64 s[10:11], vcc
	s_cbranch_execz .LBB0_3
; %bb.2:
	v_mad_u64_u32 v[2:3], s[14:15], s8, v20, 0
	v_mov_b32_e32 v4, v3
	v_mad_u64_u32 v[4:5], s[14:15], s9, v20, v[4:5]
	v_mov_b32_e32 v3, v4
	v_lshl_add_u64 v[0:1], v[2:3], 3, v[0:1]
	s_lshl_b64 s[8:9], s[8:9], 7
	global_load_dwordx2 v[2:3], v[0:1], off
	global_load_dwordx2 v[4:5], v[28:29], off offset:80
	v_lshl_add_u64 v[0:1], v[0:1], 0, s[8:9]
	global_load_dwordx2 v[6:7], v[28:29], off offset:208
	global_load_dwordx2 v[8:9], v[0:1], off
	v_lshl_add_u64 v[0:1], v[0:1], 0, s[8:9]
	global_load_dwordx2 v[10:11], v[0:1], off
	global_load_dwordx2 v[12:13], v[28:29], off offset:336
	global_load_dwordx2 v[14:15], v[28:29], off offset:464
	v_lshl_add_u64 v[0:1], v[0:1], 0, s[8:9]
	global_load_dwordx2 v[16:17], v[0:1], off
	global_load_dwordx2 v[18:19], v[28:29], off offset:592
	v_lshl_add_u64 v[0:1], v[0:1], 0, s[8:9]
	global_load_dwordx2 v[0:1], v[0:1], off
	s_waitcnt vmcnt(8)
	v_mul_f32_e32 v22, v3, v5
	v_mul_f32_e32 v5, v2, v5
	v_fmac_f32_e32 v22, v2, v4
	v_fma_f32 v23, v3, v4, -v5
	s_waitcnt vmcnt(6)
	v_mul_f32_e32 v2, v9, v7
	v_mul_f32_e32 v3, v8, v7
	v_fmac_f32_e32 v2, v8, v6
	v_fma_f32 v3, v9, v6, -v3
	s_waitcnt vmcnt(4)
	v_mul_f32_e32 v4, v11, v13
	v_mul_f32_e32 v5, v10, v13
	ds_write2_b64 v33, v[22:23], v[2:3] offset0:10 offset1:26
	s_waitcnt vmcnt(2)
	v_mul_f32_e32 v2, v17, v15
	v_mul_f32_e32 v3, v16, v15
	s_waitcnt vmcnt(0)
	v_mul_f32_e32 v6, v1, v19
	v_mul_f32_e32 v7, v0, v19
	v_fmac_f32_e32 v4, v10, v12
	v_fma_f32 v5, v11, v12, -v5
	v_fmac_f32_e32 v2, v16, v14
	v_fma_f32 v3, v17, v14, -v3
	;; [unrolled: 2-line block ×3, first 2 shown]
	ds_write2_b64 v33, v[4:5], v[2:3] offset0:42 offset1:58
	ds_write_b64 v33, v[6:7] offset:592
.LBB0_3:
	s_or_b64 exec, exec, s[10:11]
	s_waitcnt lgkmcnt(0)
	; wave barrier
	s_waitcnt lgkmcnt(0)
	ds_read_b64 v[24:25], v79
	ds_read2_b64 v[12:15], v33 offset0:16 offset1:32
	ds_read2_b64 v[16:19], v33 offset0:48 offset1:64
	s_load_dwordx2 s[8:9], s[0:1], 0x8
                                        ; implicit-def: $vgpr22
                                        ; implicit-def: $vgpr6
                                        ; implicit-def: $vgpr10
	s_and_saveexec_b64 s[0:1], vcc
	s_cbranch_execz .LBB0_5
; %bb.4:
	ds_read2_b64 v[8:11], v33 offset0:10 offset1:26
	ds_read2_b64 v[4:7], v33 offset0:42 offset1:58
	ds_read_b64 v[22:23], v33 offset:592
.LBB0_5:
	s_or_b64 exec, exec, s[0:1]
	s_waitcnt lgkmcnt(0)
	v_pk_add_f32 v[2:3], v[4:5], v[6:7]
	v_pk_add_f32 v[26:27], v[10:11], v[22:23] neg_lo:[0,1] neg_hi:[0,1]
	v_pk_fma_f32 v[2:3], v[2:3], 0.5, v[8:9] op_sel_hi:[1,0,1] neg_lo:[1,0,0] neg_hi:[1,0,0]
	s_mov_b32 s14, 0x3f737871
	v_pk_add_f32 v[48:49], v[4:5], v[6:7] neg_lo:[0,1] neg_hi:[0,1]
	v_pk_add_f32 v[44:45], v[10:11], v[4:5] neg_lo:[0,1] neg_hi:[0,1]
	;; [unrolled: 1-line block ×3, first 2 shown]
	v_pk_add_f32 v[56:57], v[22:23], v[10:11]
	s_mov_b32 s0, 0x3f167918
	v_pk_fma_f32 v[50:51], v[26:27], s[14:15], v[2:3] op_sel:[1,0,0] op_sel_hi:[0,0,1] neg_lo:[1,0,0] neg_hi:[1,0,0]
	v_pk_fma_f32 v[52:53], v[26:27], s[14:15], v[2:3] op_sel:[1,0,0] op_sel_hi:[0,0,1]
	v_pk_add_f32 v[54:55], v[46:47], v[44:45]
	v_pk_fma_f32 v[2:3], v[48:49], s[0:1], v[50:51] op_sel:[1,0,0] op_sel_hi:[0,0,1] neg_lo:[1,0,0] neg_hi:[1,0,0]
	v_pk_fma_f32 v[44:45], v[48:49], s[0:1], v[52:53] op_sel:[1,0,0] op_sel_hi:[0,0,1]
	v_pk_fma_f32 v[46:47], v[56:57], 0.5, v[8:9] op_sel_hi:[1,0,1] neg_lo:[1,0,0] neg_hi:[1,0,0]
	v_pk_add_f32 v[58:59], v[4:5], v[10:11] neg_lo:[0,1] neg_hi:[0,1]
	v_pk_add_f32 v[60:61], v[6:7], v[22:23] neg_lo:[0,1] neg_hi:[0,1]
	v_mov_b32_e32 v3, v45
	v_pk_fma_f32 v[44:45], v[48:49], s[14:15], v[46:47] op_sel:[1,0,0] op_sel_hi:[0,0,1]
	v_pk_fma_f32 v[46:47], v[48:49], s[14:15], v[46:47] op_sel:[1,0,0] op_sel_hi:[0,0,1] neg_lo:[1,0,0] neg_hi:[1,0,0]
	v_pk_add_f32 v[56:57], v[60:61], v[58:59]
	v_pk_fma_f32 v[58:59], v[26:27], s[0:1], v[44:45] op_sel:[1,0,0] op_sel_hi:[0,0,1] neg_lo:[1,0,0] neg_hi:[1,0,0]
	v_pk_fma_f32 v[60:61], v[26:27], s[0:1], v[46:47] op_sel:[1,0,0] op_sel_hi:[0,0,1]
	v_mov_b32_e32 v59, v61
	v_pk_add_f32 v[60:61], v[14:15], v[16:17]
	v_pk_add_f32 v[64:65], v[12:13], v[18:19] neg_lo:[0,1] neg_hi:[0,1]
	v_pk_fma_f32 v[60:61], v[60:61], 0.5, v[24:25] op_sel_hi:[1,0,1] neg_lo:[1,0,0] neg_hi:[1,0,0]
	v_pk_mul_f32 v[66:67], v[64:65], s[14:15] op_sel_hi:[1,0]
	v_pk_add_f32 v[68:69], v[14:15], v[16:17] neg_lo:[0,1] neg_hi:[0,1]
	v_pk_add_f32 v[70:71], v[12:13], v[14:15] neg_lo:[0,1] neg_hi:[0,1]
	;; [unrolled: 1-line block ×3, first 2 shown]
	v_pk_add_f32 v[0:1], v[24:25], v[12:13]
	v_pk_add_f32 v[70:71], v[70:71], v[72:73]
	v_pk_add_f32 v[72:73], v[60:61], v[66:67] op_sel:[0,1] op_sel_hi:[1,0]
	v_pk_add_f32 v[60:61], v[60:61], v[66:67] op_sel:[0,1] op_sel_hi:[1,0] neg_lo:[0,1] neg_hi:[0,1]
	v_pk_mul_f32 v[66:67], v[68:69], s[0:1] op_sel_hi:[1,0]
	v_pk_add_f32 v[0:1], v[0:1], v[14:15]
	v_pk_add_f32 v[60:61], v[60:61], v[66:67] op_sel:[0,1] op_sel_hi:[1,0] neg_lo:[0,1] neg_hi:[0,1]
	v_pk_add_f32 v[66:67], v[72:73], v[66:67] op_sel:[0,1] op_sel_hi:[1,0]
	s_mov_b32 s10, 0x3e9e377a
	v_mul_lo_u16_e32 v21, 5, v30
	v_pk_add_f32 v[0:1], v[0:1], v[16:17]
	v_mov_b32_e32 v72, v66
	v_mov_b32_e32 v73, v61
	v_add_lshl_u32 v81, v80, v21, 3
	v_pk_add_f32 v[0:1], v[0:1], v[18:19]
	v_pk_fma_f32 v[72:73], v[70:71], s[10:11], v[72:73] op_sel_hi:[1,0,1]
	s_waitcnt lgkmcnt(0)
	; wave barrier
	ds_write2_b64 v81, v[0:1], v[72:73] offset1:1
	v_pk_fma_f32 v[0:1], v[56:57], s[10:11], v[58:59] op_sel_hi:[1,0,1]
	v_pk_add_f32 v[58:59], v[12:13], v[18:19]
	v_pk_add_f32 v[12:13], v[14:15], v[12:13] neg_lo:[0,1] neg_hi:[0,1]
	v_pk_add_f32 v[14:15], v[16:17], v[18:19] neg_lo:[0,1] neg_hi:[0,1]
	v_pk_fma_f32 v[24:25], v[58:59], 0.5, v[24:25] op_sel_hi:[1,0,1] neg_lo:[1,0,0] neg_hi:[1,0,0]
	v_pk_add_f32 v[12:13], v[12:13], v[14:15]
	v_pk_mul_f32 v[14:15], v[68:69], s[14:15] op_sel_hi:[1,0]
	v_pk_mul_f32 v[16:17], v[64:65], s[0:1] op_sel_hi:[1,0]
	v_pk_add_f32 v[18:19], v[24:25], v[14:15] op_sel:[0,1] op_sel_hi:[1,0] neg_lo:[0,1] neg_hi:[0,1]
	v_pk_add_f32 v[14:15], v[24:25], v[14:15] op_sel:[0,1] op_sel_hi:[1,0]
	v_mov_b32_e32 v61, v67
	v_pk_add_f32 v[14:15], v[14:15], v[16:17] op_sel:[0,1] op_sel_hi:[1,0] neg_lo:[0,1] neg_hi:[0,1]
	v_pk_add_f32 v[16:17], v[18:19], v[16:17] op_sel:[0,1] op_sel_hi:[1,0]
	v_mov_b32_e32 v19, v15
	v_mov_b32_e32 v18, v16
	;; [unrolled: 1-line block ×3, first 2 shown]
	v_pk_fma_f32 v[18:19], v[12:13], s[10:11], v[18:19] op_sel_hi:[1,0,1]
	v_pk_fma_f32 v[12:13], v[12:13], s[10:11], v[14:15] op_sel_hi:[1,0,1]
	;; [unrolled: 1-line block ×3, first 2 shown]
	ds_write2_b64 v81, v[18:19], v[12:13] offset0:2 offset1:3
	v_pk_fma_f32 v[12:13], v[70:71], s[10:11], v[60:61] op_sel_hi:[1,0,1]
	v_mul_u32_u24_e32 v82, 5, v20
	ds_write_b64 v81, v[12:13] offset:32
	s_and_saveexec_b64 s[14:15], vcc
	s_cbranch_execz .LBB0_7
; %bb.6:
	v_pk_add_f32 v[8:9], v[10:11], v[8:9]
	v_pk_mul_f32 v[12:13], v[48:49], s[0:1] op_sel:[1,0] op_sel_hi:[0,0]
	v_pk_add_f32 v[4:5], v[4:5], v[8:9]
	v_pk_add_f32 v[8:9], v[50:51], v[12:13] neg_lo:[0,1] neg_hi:[0,1]
	v_pk_add_f32 v[4:5], v[6:7], v[4:5]
	v_pk_add_f32 v[6:7], v[52:53], v[12:13]
	v_pk_mul_f32 v[14:15], v[54:55], s[10:11] op_sel_hi:[1,0]
	v_mov_b32_e32 v7, v9
	v_pk_mul_f32 v[16:17], v[26:27], s[0:1] op_sel:[1,0] op_sel_hi:[0,0]
	v_add_lshl_u32 v21, v80, v82, 3
	v_pk_add_f32 v[4:5], v[22:23], v[4:5]
	v_pk_add_f32 v[6:7], v[14:15], v[6:7]
	ds_write2_b64 v21, v[4:5], v[6:7] offset1:1
	v_pk_add_f32 v[4:5], v[46:47], v[16:17]
	v_pk_add_f32 v[6:7], v[44:45], v[16:17] neg_lo:[0,1] neg_hi:[0,1]
	v_pk_mul_f32 v[18:19], v[56:57], s[10:11] op_sel_hi:[1,0]
	v_mov_b32_e32 v5, v7
	v_pk_add_f32 v[4:5], v[18:19], v[4:5]
	ds_write2_b64 v21, v[4:5], v[0:1] offset0:2 offset1:3
	ds_write_b64 v21, v[2:3] offset:32
.LBB0_7:
	s_or_b64 exec, exec, s[14:15]
	v_lshl_add_u64 v[4:5], v[30:31], 0, -5
	v_cmp_gt_u16_e64 s[0:1], 5, v30
	s_waitcnt lgkmcnt(0)
	; wave barrier
	s_waitcnt lgkmcnt(0)
	v_cndmask_b32_e64 v17, v5, 0, s[0:1]
	v_cndmask_b32_e64 v16, v4, v30, s[0:1]
	v_lshl_add_u64 v[4:5], v[16:17], 3, s[8:9]
	global_load_dwordx2 v[44:45], v[4:5], off
	s_movk_i32 s0, 0xcd
	v_add_u16_e32 v5, 20, v30
	v_mul_lo_u16_sdwa v6, v5, s0 dst_sel:DWORD dst_unused:UNUSED_PAD src0_sel:BYTE_0 src1_sel:DWORD
	v_lshrrev_b16_e32 v25, 10, v6
	v_mul_lo_u16_e32 v6, 5, v25
	v_sub_u16_e32 v26, v5, v6
	v_add_u16_e32 v6, 30, v30
	v_mul_lo_u16_sdwa v4, v20, s0 dst_sel:DWORD dst_unused:UNUSED_PAD src0_sel:BYTE_0 src1_sel:DWORD
	v_mul_lo_u16_sdwa v7, v6, s0 dst_sel:DWORD dst_unused:UNUSED_PAD src0_sel:BYTE_0 src1_sel:DWORD
	v_lshrrev_b16_e32 v17, 10, v4
	v_lshrrev_b16_e32 v27, 10, v7
	v_mul_lo_u16_e32 v4, 5, v17
	v_mul_lo_u16_e32 v7, 5, v27
	v_sub_u16_e32 v24, v20, v4
	v_mov_b32_e32 v4, 3
	v_sub_u16_e32 v52, v6, v7
	v_lshlrev_b32_sdwa v5, v4, v26 dst_sel:DWORD dst_unused:UNUSED_PAD src0_sel:DWORD src1_sel:BYTE_0
	v_lshlrev_b32_sdwa v6, v4, v52 dst_sel:DWORD dst_unused:UNUSED_PAD src0_sel:DWORD src1_sel:BYTE_0
	global_load_dwordx2 v[50:51], v6, s[8:9]
	v_lshlrev_b32_sdwa v4, v4, v24 dst_sel:DWORD dst_unused:UNUSED_PAD src0_sel:DWORD src1_sel:BYTE_0
	global_load_dwordx2 v[48:49], v5, s[8:9]
	global_load_dwordx2 v[46:47], v4, s[8:9]
	v_cmp_lt_u16_e64 s[0:1], 4, v30
	ds_read2_b64 v[4:7], v33 offset0:30 offset1:40
	ds_read2_b64 v[8:11], v33 offset0:10 offset1:20
	;; [unrolled: 1-line block ×3, first 2 shown]
	ds_read_b64 v[18:19], v33 offset:560
	ds_read_b64 v[20:21], v79
	v_cndmask_b32_e64 v31, 0, 10, s[0:1]
	v_add_u32_e32 v16, v16, v31
	v_add_lshl_u32 v31, v80, v16, 3
	v_mad_legacy_u16 v16, v17, 10, v24
	v_mad_legacy_u16 v17, v25, 10, v26
	;; [unrolled: 1-line block ×3, first 2 shown]
	v_and_b32_e32 v16, 0xff, v16
	v_and_b32_e32 v17, 0xff, v17
	;; [unrolled: 1-line block ×3, first 2 shown]
	v_add_lshl_u32 v83, v80, v16, 3
	v_add_lshl_u32 v84, v80, v17, 3
	;; [unrolled: 1-line block ×3, first 2 shown]
	v_mad_u64_u32 v[22:23], s[0:1], v30, 56, s[8:9]
	s_waitcnt lgkmcnt(0)
	; wave barrier
	s_waitcnt lgkmcnt(0)
	s_mov_b32 s0, 0x3f3504f3
	s_waitcnt vmcnt(3)
	v_pk_mul_f32 v[16:17], v[6:7], v[44:45] op_sel:[0,1]
	s_nop 0
	v_pk_fma_f32 v[24:25], v[6:7], v[44:45], v[16:17] op_sel:[0,0,1] op_sel_hi:[1,1,0] neg_lo:[0,0,1] neg_hi:[0,0,1]
	v_pk_fma_f32 v[6:7], v[6:7], v[44:45], v[16:17] op_sel:[0,0,1] op_sel_hi:[1,0,0]
	s_waitcnt vmcnt(1)
	v_pk_mul_f32 v[16:17], v[14:15], v[48:49] op_sel:[0,1]
	v_mov_b32_e32 v25, v7
	v_pk_mul_f32 v[6:7], v[18:19], v[50:51] op_sel:[0,1]
	s_waitcnt vmcnt(0)
	v_pk_mul_f32 v[26:27], v[12:13], v[46:47] op_sel:[0,1]
	v_pk_fma_f32 v[52:53], v[18:19], v[50:51], v[6:7] op_sel:[0,0,1] op_sel_hi:[1,1,0] neg_lo:[0,0,1] neg_hi:[0,0,1]
	v_pk_fma_f32 v[6:7], v[18:19], v[50:51], v[6:7] op_sel:[0,0,1] op_sel_hi:[1,0,0]
	v_pk_fma_f32 v[18:19], v[14:15], v[48:49], v[16:17] op_sel:[0,0,1] op_sel_hi:[1,1,0] neg_lo:[0,0,1] neg_hi:[0,0,1]
	v_pk_fma_f32 v[14:15], v[14:15], v[48:49], v[16:17] op_sel:[0,0,1] op_sel_hi:[1,0,0]
	;; [unrolled: 2-line block ×3, first 2 shown]
	v_mov_b32_e32 v53, v7
	v_mov_b32_e32 v19, v15
	;; [unrolled: 1-line block ×3, first 2 shown]
	v_pk_add_f32 v[24:25], v[20:21], v[24:25] neg_lo:[0,1] neg_hi:[0,1]
	v_pk_add_f32 v[6:7], v[4:5], v[52:53] neg_lo:[0,1] neg_hi:[0,1]
	;; [unrolled: 1-line block ×4, first 2 shown]
	v_pk_fma_f32 v[20:21], v[20:21], 2.0, v[24:25] op_sel_hi:[1,0,1] neg_lo:[0,0,1] neg_hi:[0,0,1]
	v_pk_fma_f32 v[4:5], v[4:5], 2.0, v[6:7] op_sel_hi:[1,0,1] neg_lo:[0,0,1] neg_hi:[0,0,1]
	;; [unrolled: 1-line block ×4, first 2 shown]
	ds_write2_b64 v31, v[20:21], v[24:25] offset1:5
	ds_write2_b64 v83, v[8:9], v[14:15] offset1:5
	;; [unrolled: 1-line block ×4, first 2 shown]
	s_waitcnt lgkmcnt(0)
	; wave barrier
	s_waitcnt lgkmcnt(0)
	global_load_dwordx4 v[4:7], v[22:23], off offset:72
	global_load_dwordx4 v[8:11], v[22:23], off offset:56
	;; [unrolled: 1-line block ×3, first 2 shown]
	global_load_dwordx2 v[52:53], v[22:23], off offset:88
	ds_read2_b64 v[16:19], v33 offset0:30 offset1:40
	ds_read2_b64 v[20:23], v33 offset0:10 offset1:20
	;; [unrolled: 1-line block ×3, first 2 shown]
	ds_read_b64 v[54:55], v33 offset:560
	ds_read_b64 v[64:65], v79
	s_waitcnt lgkmcnt(4)
	v_mov_b32_e32 v66, v16
	s_waitcnt lgkmcnt(3)
	v_mov_b32_e32 v67, v20
	v_mov_b32_e32 v20, v17
	s_waitcnt lgkmcnt(1)
	v_mov_b32_e32 v16, v54
	v_mov_b32_e32 v17, v24
	v_mov_b32_e32 v24, v55
	s_waitcnt vmcnt(3)
	v_mov_b32_e32 v54, v7
	s_waitcnt vmcnt(2)
	v_mov_b32_e32 v58, v11
	;; [unrolled: 2-line block ×3, first 2 shown]
	v_pk_mul_f32 v[68:69], v[22:23], v[14:15] op_sel_hi:[1,0]
	v_mov_b32_e32 v72, v9
	v_mov_b32_e32 v73, v13
	v_pk_mul_f32 v[74:75], v[26:27], v[6:7] op_sel_hi:[1,0]
	s_waitcnt vmcnt(0)
	v_mov_b32_e32 v56, v53
	v_mov_b32_e32 v57, v5
	;; [unrolled: 1-line block ×6, first 2 shown]
	v_pk_fma_f32 v[88:89], v[22:23], v[60:61], v[68:69] op_sel:[0,0,1] op_sel_hi:[1,1,0]
	v_pk_fma_f32 v[22:23], v[22:23], v[60:61], v[68:69] op_sel:[0,0,1] op_sel_hi:[1,0,0] neg_lo:[1,0,0] neg_hi:[1,0,0]
	v_pk_mul_f32 v[68:69], v[20:21], v[72:73]
	v_pk_mul_f32 v[72:73], v[66:67], v[72:73]
	v_pk_mul_f32 v[90:91], v[18:19], v[58:59] op_sel_hi:[1,0]
	v_pk_fma_f32 v[92:93], v[26:27], v[54:55], v[74:75] op_sel:[0,0,1] op_sel_hi:[1,1,0]
	v_pk_fma_f32 v[26:27], v[26:27], v[54:55], v[74:75] op_sel:[0,0,1] op_sel_hi:[1,0,0] neg_lo:[1,0,0] neg_hi:[1,0,0]
	v_pk_mul_f32 v[74:75], v[24:25], v[56:57]
	v_pk_mul_f32 v[94:95], v[16:17], v[56:57]
	v_pk_fma_f32 v[20:21], v[20:21], v[70:71], v[72:73]
	v_mov_b32_e32 v89, v23
	v_pk_fma_f32 v[22:23], v[66:67], v[70:71], v[68:69] neg_lo:[0,0,1] neg_hi:[0,0,1]
	v_pk_fma_f32 v[66:67], v[18:19], v[10:11], v[90:91] op_sel:[0,0,1] op_sel_hi:[1,1,0] neg_lo:[0,0,1] neg_hi:[0,0,1]
	v_pk_fma_f32 v[18:19], v[18:19], v[10:11], v[90:91] op_sel:[0,0,1] op_sel_hi:[1,0,0]
	v_pk_fma_f32 v[16:17], v[16:17], v[86:87], v[74:75] neg_lo:[0,0,1] neg_hi:[0,0,1]
	v_pk_fma_f32 v[24:25], v[24:25], v[86:87], v[94:95]
	v_mov_b32_e32 v93, v27
	v_mov_b32_e32 v67, v19
	v_pk_add_f32 v[16:17], v[22:23], v[16:17] neg_lo:[0,1] neg_hi:[0,1]
	v_pk_add_f32 v[24:25], v[20:21], v[24:25] neg_lo:[0,1] neg_hi:[0,1]
	v_pk_add_f32 v[18:19], v[88:89], v[92:93] neg_lo:[0,1] neg_hi:[0,1]
	v_mov_b32_e32 v26, v21
	v_mov_b32_e32 v27, v23
	;; [unrolled: 1-line block ×3, first 2 shown]
	s_waitcnt lgkmcnt(0)
	v_pk_add_f32 v[22:23], v[64:65], v[66:67] neg_lo:[0,1] neg_hi:[0,1]
	v_mov_b32_e32 v70, v24
	v_mov_b32_e32 v71, v16
	v_pk_fma_f32 v[66:67], v[88:89], 2.0, v[18:19] op_sel_hi:[1,0,1] neg_lo:[0,0,1] neg_hi:[0,0,1]
	v_mov_b32_e32 v68, v25
	v_mov_b32_e32 v69, v17
	v_pk_add_f32 v[72:73], v[16:17], v[24:25] op_sel:[1,0] op_sel_hi:[0,1] neg_lo:[0,1] neg_hi:[0,1]
	v_pk_add_f32 v[16:17], v[16:17], v[24:25] op_sel:[1,0] op_sel_hi:[0,1]
	v_pk_fma_f32 v[20:21], v[20:21], 2.0, v[70:71] op_sel_hi:[1,0,1] neg_lo:[0,0,1] neg_hi:[0,0,1]
	v_pk_add_f32 v[70:71], v[22:23], v[18:19] neg_lo:[0,1] neg_hi:[0,1]
	v_pk_add_f32 v[18:19], v[22:23], v[18:19]
	v_pk_fma_f32 v[26:27], v[26:27], 2.0, v[68:69] op_sel_hi:[1,0,1] neg_lo:[0,0,1] neg_hi:[0,0,1]
	v_mov_b32_e32 v73, v17
	v_pk_add_f32 v[16:17], v[68:69], v[68:69]
	v_mov_b32_e32 v71, v19
	v_pk_fma_f32 v[24:25], v[64:65], 2.0, v[22:23] op_sel_hi:[1,0,1] neg_lo:[0,0,1] neg_hi:[0,0,1]
	v_pk_add_f32 v[18:19], v[26:27], v[20:21] neg_lo:[0,1] neg_hi:[0,1]
	v_pk_add_f32 v[20:21], v[16:17], v[72:73] op_sel:[1,0] op_sel_hi:[0,1] neg_lo:[0,1] neg_hi:[0,1]
	v_pk_fma_f32 v[22:23], v[22:23], 2.0, v[70:71] op_sel_hi:[1,0,1] neg_lo:[0,0,1] neg_hi:[0,0,1]
	v_pk_add_f32 v[66:67], v[24:25], v[66:67] op_sel:[0,1] op_sel_hi:[1,0] neg_lo:[0,1] neg_hi:[0,1]
	v_pk_mul_f32 v[64:65], v[72:73], s[0:1] op_sel_hi:[1,0]
	v_pk_mul_f32 v[68:69], v[20:21], s[0:1] op_sel_hi:[1,0]
	v_pk_fma_f32 v[72:73], v[72:73], s[0:1], v[70:71] op_sel_hi:[1,0,1]
	v_pk_fma_f32 v[20:21], v[20:21], s[0:1], v[22:23] op_sel_hi:[1,0,1] neg_lo:[1,0,0] neg_hi:[1,0,0]
	v_pk_add_f32 v[16:17], v[66:67], v[18:19] neg_lo:[0,1] neg_hi:[0,1]
	v_pk_add_f32 v[74:75], v[66:67], v[18:19]
	v_pk_fma_f32 v[24:25], v[24:25], 2.0, v[66:67] op_sel_hi:[1,0,1] neg_lo:[0,0,1] neg_hi:[0,0,1]
	v_pk_fma_f32 v[26:27], v[26:27], 2.0, v[18:19] op_sel_hi:[1,0,1] neg_lo:[0,0,1] neg_hi:[0,0,1]
	v_pk_add_f32 v[18:19], v[72:73], v[64:65] op_sel:[0,1] op_sel_hi:[1,0] neg_lo:[0,1] neg_hi:[0,1]
	v_pk_add_f32 v[72:73], v[72:73], v[64:65] op_sel:[0,1] op_sel_hi:[1,0]
	v_pk_add_f32 v[64:65], v[20:21], v[68:69] op_sel:[0,1] op_sel_hi:[1,0] neg_lo:[0,1] neg_hi:[0,1]
	v_pk_add_f32 v[20:21], v[20:21], v[68:69] op_sel:[0,1] op_sel_hi:[1,0]
	v_pk_add_f32 v[26:27], v[24:25], v[26:27] op_sel:[0,1] op_sel_hi:[1,0] neg_lo:[0,1] neg_hi:[0,1]
	v_mov_b32_e32 v19, v73
	v_mov_b32_e32 v65, v21
	;; [unrolled: 1-line block ×3, first 2 shown]
	v_pk_fma_f32 v[24:25], v[24:25], 2.0, v[26:27] op_sel_hi:[1,0,1] neg_lo:[0,0,1] neg_hi:[0,0,1]
	v_pk_fma_f32 v[20:21], v[70:71], 2.0, v[18:19] op_sel_hi:[1,0,1] neg_lo:[0,0,1] neg_hi:[0,0,1]
	;; [unrolled: 1-line block ×4, first 2 shown]
	ds_write_b64 v79, v[24:25]
	ds_write_b64 v33, v[18:19] offset:560
	ds_write2_b64 v33, v[20:21], v[26:27] offset0:30 offset1:40
	ds_write2_b64 v33, v[64:65], v[16:17] offset0:50 offset1:60
	;; [unrolled: 1-line block ×3, first 2 shown]
	s_waitcnt lgkmcnt(0)
	; wave barrier
	s_waitcnt lgkmcnt(0)
	global_load_dwordx2 v[22:23], v[28:29], off offset:640
	s_add_u32 s0, s12, 0x280
	v_lshlrev_b32_e32 v20, 3, v30
	s_addc_u32 s1, s13, 0
	global_load_dwordx2 v[26:27], v20, s[0:1] offset:128
	global_load_dwordx2 v[70:71], v20, s[0:1] offset:256
	;; [unrolled: 1-line block ×4, first 2 shown]
	ds_read_b64 v[24:25], v79
	v_mov_b32_e32 v62, v9
	s_waitcnt vmcnt(4) lgkmcnt(0)
	v_mul_f32_e32 v7, v25, v23
	v_mul_f32_e32 v67, v24, v23
	v_fma_f32 v66, v24, v22, -v7
	v_fmac_f32_e32 v67, v25, v22
	ds_write_b64 v79, v[66:67]
	ds_read2_b64 v[22:25], v33 offset0:16 offset1:32
	ds_read2_b64 v[66:69], v33 offset0:48 offset1:64
	s_waitcnt vmcnt(3) lgkmcnt(1)
	v_mul_f32_e32 v7, v23, v27
	v_mul_f32_e32 v87, v22, v27
	s_waitcnt vmcnt(2)
	v_mul_f32_e32 v11, v25, v71
	v_mul_f32_e32 v27, v24, v71
	s_waitcnt vmcnt(1) lgkmcnt(0)
	v_mul_f32_e32 v15, v67, v73
	v_mul_f32_e32 v71, v66, v73
	s_waitcnt vmcnt(0)
	v_mul_f32_e32 v21, v69, v75
	v_mul_f32_e32 v73, v68, v75
	v_fma_f32 v86, v22, v26, -v7
	v_fmac_f32_e32 v87, v23, v26
	v_fma_f32 v26, v24, v70, -v11
	v_fmac_f32_e32 v27, v25, v70
	;; [unrolled: 2-line block ×4, first 2 shown]
	ds_write2_b64 v33, v[86:87], v[26:27] offset0:16 offset1:32
	ds_write2_b64 v33, v[70:71], v[72:73] offset0:48 offset1:64
	s_and_saveexec_b64 s[8:9], vcc
	s_cbranch_execz .LBB0_9
; %bb.8:
	v_mov_b32_e32 v21, 0
	v_lshl_add_u64 v[20:21], s[0:1], 0, v[20:21]
	global_load_dwordx2 v[66:67], v[20:21], off offset:80
	global_load_dwordx2 v[68:69], v[20:21], off offset:208
	;; [unrolled: 1-line block ×5, first 2 shown]
	ds_read2_b64 v[20:23], v33 offset0:10 offset1:26
	ds_read2_b64 v[24:27], v33 offset0:42 offset1:58
	ds_read_b64 v[86:87], v33 offset:592
	s_waitcnt vmcnt(4) lgkmcnt(2)
	v_mul_f32_e32 v7, v21, v67
	v_mul_f32_e32 v89, v20, v67
	s_waitcnt vmcnt(3)
	v_mul_f32_e32 v11, v23, v69
	v_mul_f32_e32 v67, v22, v69
	s_waitcnt vmcnt(2) lgkmcnt(1)
	v_mul_f32_e32 v15, v25, v71
	v_mul_f32_e32 v69, v24, v71
	s_waitcnt vmcnt(1)
	v_mul_f32_e32 v55, v27, v73
	v_mul_f32_e32 v71, v26, v73
	s_waitcnt vmcnt(0) lgkmcnt(0)
	v_mul_f32_e32 v57, v87, v75
	v_mul_f32_e32 v73, v86, v75
	v_fma_f32 v88, v20, v66, -v7
	v_fmac_f32_e32 v89, v21, v66
	v_fma_f32 v66, v22, v68, -v11
	v_fmac_f32_e32 v67, v23, v68
	v_fma_f32 v68, v24, v70, -v15
	v_fmac_f32_e32 v69, v25, v70
	v_fma_f32 v70, v26, v72, -v55
	v_fmac_f32_e32 v71, v27, v72
	v_fma_f32 v72, v86, v74, -v57
	v_fmac_f32_e32 v73, v87, v74
	ds_write2_b64 v33, v[88:89], v[66:67] offset0:10 offset1:26
	ds_write2_b64 v33, v[68:69], v[70:71] offset0:42 offset1:58
	ds_write_b64 v33, v[72:73] offset:592
.LBB0_9:
	s_or_b64 exec, exec, s[8:9]
	s_waitcnt lgkmcnt(0)
	; wave barrier
	s_waitcnt lgkmcnt(0)
	ds_read_b64 v[74:75], v79
	ds_read2_b64 v[20:23], v33 offset0:16 offset1:32
	ds_read2_b64 v[24:27], v33 offset0:48 offset1:64
	s_and_saveexec_b64 s[0:1], vcc
	s_cbranch_execz .LBB0_11
; %bb.10:
	v_lshlrev_b32_e32 v0, 3, v80
	v_lshl_add_u32 v7, v30, 3, v0
	ds_read_b64 v[64:65], v33 offset:80
	ds_read2_b64 v[0:3], v7 offset0:58 offset1:74
	ds_read2_b64 v[16:19], v7 offset0:26 offset1:42
.LBB0_11:
	s_or_b64 exec, exec, s[0:1]
	s_waitcnt lgkmcnt(0)
	v_pk_add_f32 v[88:89], v[22:23], v[24:25]
	v_pk_add_f32 v[90:91], v[20:21], v[26:27] neg_lo:[0,1] neg_hi:[0,1]
	s_mov_b32 s8, 0x3f737871
	v_pk_fma_f32 v[88:89], v[88:89], 0.5, v[74:75] op_sel_hi:[1,0,1] neg_lo:[1,0,0] neg_hi:[1,0,0]
	v_pk_mul_f32 v[92:93], v[90:91], s[8:9] op_sel_hi:[1,0]
	v_pk_add_f32 v[94:95], v[22:23], v[24:25] neg_lo:[0,1] neg_hi:[0,1]
	s_mov_b32 s10, 0x3f167918
	v_pk_add_f32 v[98:99], v[20:21], v[22:23] neg_lo:[0,1] neg_hi:[0,1]
	v_pk_add_f32 v[100:101], v[26:27], v[24:25] neg_lo:[0,1] neg_hi:[0,1]
	v_pk_add_f32 v[86:87], v[74:75], v[20:21]
	v_pk_mul_f32 v[96:97], v[94:95], s[10:11] op_sel_hi:[1,0]
	v_pk_add_f32 v[98:99], v[98:99], v[100:101]
	v_pk_add_f32 v[100:101], v[88:89], v[92:93] op_sel:[0,1] op_sel_hi:[1,0] neg_lo:[0,1] neg_hi:[0,1]
	v_pk_add_f32 v[88:89], v[88:89], v[92:93] op_sel:[0,1] op_sel_hi:[1,0]
	v_pk_add_f32 v[86:87], v[86:87], v[22:23]
	v_pk_add_f32 v[88:89], v[88:89], v[96:97] op_sel:[0,1] op_sel_hi:[1,0]
	v_pk_add_f32 v[92:93], v[100:101], v[96:97] op_sel:[0,1] op_sel_hi:[1,0] neg_lo:[0,1] neg_hi:[0,1]
	v_pk_add_f32 v[86:87], v[86:87], v[24:25]
	s_mov_b32 s0, 0x3e9e377a
	v_mov_b32_e32 v96, v92
	v_mov_b32_e32 v97, v89
	v_pk_add_f32 v[86:87], v[86:87], v[26:27]
	v_pk_fma_f32 v[96:97], v[98:99], s[0:1], v[96:97] op_sel_hi:[1,0,1]
	s_waitcnt lgkmcnt(0)
	; wave barrier
	ds_write2_b64 v81, v[86:87], v[96:97] offset1:1
	v_pk_add_f32 v[86:87], v[20:21], v[26:27]
	v_pk_add_f32 v[20:21], v[22:23], v[20:21] neg_lo:[0,1] neg_hi:[0,1]
	v_pk_add_f32 v[22:23], v[24:25], v[26:27] neg_lo:[0,1] neg_hi:[0,1]
	v_pk_fma_f32 v[74:75], v[86:87], 0.5, v[74:75] op_sel_hi:[1,0,1] neg_lo:[1,0,0] neg_hi:[1,0,0]
	v_pk_add_f32 v[20:21], v[20:21], v[22:23]
	v_pk_mul_f32 v[22:23], v[94:95], s[8:9] op_sel_hi:[1,0]
	v_pk_mul_f32 v[24:25], v[90:91], s[10:11] op_sel_hi:[1,0]
	v_pk_add_f32 v[26:27], v[74:75], v[22:23] op_sel:[0,1] op_sel_hi:[1,0]
	v_pk_add_f32 v[22:23], v[74:75], v[22:23] op_sel:[0,1] op_sel_hi:[1,0] neg_lo:[0,1] neg_hi:[0,1]
	v_mov_b32_e32 v89, v93
	v_pk_add_f32 v[22:23], v[22:23], v[24:25] op_sel:[0,1] op_sel_hi:[1,0]
	v_pk_add_f32 v[24:25], v[26:27], v[24:25] op_sel:[0,1] op_sel_hi:[1,0] neg_lo:[0,1] neg_hi:[0,1]
	v_mov_b32_e32 v27, v23
	v_mov_b32_e32 v26, v24
	;; [unrolled: 1-line block ×3, first 2 shown]
	v_pk_fma_f32 v[26:27], v[20:21], s[0:1], v[26:27] op_sel_hi:[1,0,1]
	v_pk_fma_f32 v[20:21], v[20:21], s[0:1], v[22:23] op_sel_hi:[1,0,1]
	v_mov_b32_e32 v72, v50
	v_mov_b32_e32 v73, v50
	;; [unrolled: 1-line block ×18, first 2 shown]
	ds_write2_b64 v81, v[26:27], v[20:21] offset0:2 offset1:3
	v_pk_fma_f32 v[20:21], v[98:99], s[0:1], v[88:89] op_sel_hi:[1,0,1]
	ds_write_b64 v81, v[20:21] offset:32
	s_and_saveexec_b64 s[12:13], vcc
	s_cbranch_execz .LBB0_13
; %bb.12:
	v_pk_add_f32 v[22:23], v[16:17], v[18:19] neg_lo:[0,1] neg_hi:[0,1]
	v_pk_add_f32 v[24:25], v[2:3], v[0:1] neg_lo:[0,1] neg_hi:[0,1]
	;; [unrolled: 1-line block ×3, first 2 shown]
	v_pk_add_f32 v[22:23], v[24:25], v[22:23]
	v_pk_add_f32 v[24:25], v[18:19], v[0:1]
	v_pk_mul_f32 v[74:75], v[26:27], s[8:9] op_sel_hi:[1,0]
	v_pk_fma_f32 v[24:25], v[24:25], 0.5, v[64:65] op_sel_hi:[1,0,1] neg_lo:[1,0,0] neg_hi:[1,0,0]
	v_pk_add_f32 v[20:21], v[16:17], v[64:65]
	v_add_lshl_u32 v57, v80, v82, 3
	v_pk_add_f32 v[80:81], v[24:25], v[74:75] op_sel:[0,1] op_sel_hi:[1,0] neg_lo:[0,1] neg_hi:[0,1]
	v_pk_add_f32 v[24:25], v[24:25], v[74:75] op_sel:[0,1] op_sel_hi:[1,0]
	v_pk_add_f32 v[74:75], v[18:19], v[0:1] neg_lo:[0,1] neg_hi:[0,1]
	v_pk_add_f32 v[20:21], v[18:19], v[20:21]
	v_pk_mul_f32 v[86:87], v[74:75], s[10:11] op_sel_hi:[1,0]
	v_pk_add_f32 v[20:21], v[0:1], v[20:21]
	v_pk_add_f32 v[24:25], v[24:25], v[86:87] op_sel:[0,1] op_sel_hi:[1,0]
	v_pk_add_f32 v[80:81], v[80:81], v[86:87] op_sel:[0,1] op_sel_hi:[1,0] neg_lo:[0,1] neg_hi:[0,1]
	v_pk_add_f32 v[20:21], v[2:3], v[20:21]
	v_mov_b32_e32 v86, v80
	v_mov_b32_e32 v87, v25
	v_pk_add_f32 v[0:1], v[0:1], v[2:3] neg_lo:[0,1] neg_hi:[0,1]
	v_pk_add_f32 v[2:3], v[2:3], v[16:17]
	v_pk_fma_f32 v[86:87], v[22:23], s[0:1], v[86:87] op_sel_hi:[1,0,1]
	v_pk_add_f32 v[18:19], v[18:19], v[16:17] neg_lo:[0,1] neg_hi:[0,1]
	v_pk_fma_f32 v[2:3], v[2:3], 0.5, v[64:65] op_sel_hi:[1,0,1] neg_lo:[1,0,0] neg_hi:[1,0,0]
	v_pk_mul_f32 v[16:17], v[74:75], s[8:9] op_sel_hi:[1,0]
	ds_write2_b64 v57, v[20:21], v[86:87] offset1:1
	v_pk_add_f32 v[0:1], v[0:1], v[18:19]
	v_pk_mul_f32 v[18:19], v[26:27], s[10:11] op_sel_hi:[1,0]
	v_pk_add_f32 v[20:21], v[2:3], v[16:17] op_sel:[0,1] op_sel_hi:[1,0]
	v_pk_add_f32 v[2:3], v[2:3], v[16:17] op_sel:[0,1] op_sel_hi:[1,0] neg_lo:[0,1] neg_hi:[0,1]
	v_pk_add_f32 v[16:17], v[20:21], v[18:19] op_sel:[0,1] op_sel_hi:[1,0] neg_lo:[0,1] neg_hi:[0,1]
	v_pk_add_f32 v[2:3], v[2:3], v[18:19] op_sel:[0,1] op_sel_hi:[1,0]
	v_mov_b32_e32 v18, v16
	v_mov_b32_e32 v19, v3
	v_mov_b32_e32 v3, v17
	v_pk_fma_f32 v[18:19], v[0:1], s[0:1], v[18:19] op_sel_hi:[1,0,1]
	v_pk_fma_f32 v[0:1], v[0:1], s[0:1], v[2:3] op_sel_hi:[1,0,1]
	v_mov_b32_e32 v25, v81
	ds_write2_b64 v57, v[18:19], v[0:1] offset0:2 offset1:3
	v_pk_fma_f32 v[0:1], v[22:23], s[0:1], v[24:25] op_sel_hi:[1,0,1]
	ds_write_b64 v57, v[0:1] offset:32
.LBB0_13:
	s_or_b64 exec, exec, s[12:13]
	s_waitcnt lgkmcnt(0)
	; wave barrier
	s_waitcnt lgkmcnt(0)
	ds_read_b64 v[16:17], v33 offset:560
	ds_read2_b64 v[0:3], v33 offset0:30 offset1:40
	ds_read_b64 v[64:65], v79
	v_mad_u64_u32 v[26:27], s[0:1], s6, v32, 0
	s_mov_b32 s0, 0x3f3504f3
	s_waitcnt lgkmcnt(2)
	v_pk_mul_f32 v[18:19], v[50:51], v[16:17]
	s_waitcnt lgkmcnt(1)
	v_pk_mul_f32 v[44:45], v[44:45], v[2:3]
	v_pk_fma_f32 v[20:21], v[72:73], v[16:17], v[18:19] op_sel:[0,0,1] op_sel_hi:[1,1,0]
	v_pk_fma_f32 v[22:23], v[72:73], v[16:17], v[18:19] op_sel:[0,0,1] op_sel_hi:[1,1,0] neg_lo:[0,0,1] neg_hi:[0,0,1]
	ds_read2_b64 v[16:19], v33 offset0:50 offset1:60
	v_mov_b32_e32 v21, v23
	v_pk_add_f32 v[50:51], v[0:1], v[20:21] neg_lo:[0,1] neg_hi:[0,1]
	ds_read2_b64 v[20:23], v33 offset0:10 offset1:20
	v_pk_fma_f32 v[0:1], v[0:1], 2.0, v[50:51] op_sel_hi:[1,0,1] neg_lo:[0,0,1] neg_hi:[0,0,1]
	s_waitcnt lgkmcnt(1)
	v_pk_mul_f32 v[48:49], v[48:49], v[18:19]
	v_pk_mul_f32 v[46:47], v[46:47], v[16:17]
	v_pk_fma_f32 v[72:73], v[70:71], v[18:19], v[48:49] op_sel:[0,0,1] op_sel_hi:[1,1,0]
	v_pk_fma_f32 v[18:19], v[70:71], v[18:19], v[48:49] op_sel:[0,0,1] op_sel_hi:[1,1,0] neg_lo:[0,0,1] neg_hi:[0,0,1]
	v_pk_fma_f32 v[48:49], v[68:69], v[16:17], v[46:47] op_sel:[0,0,1] op_sel_hi:[1,1,0]
	v_pk_fma_f32 v[16:17], v[68:69], v[16:17], v[46:47] op_sel:[0,0,1] op_sel_hi:[1,1,0] neg_lo:[0,0,1] neg_hi:[0,0,1]
	;; [unrolled: 2-line block ×3, first 2 shown]
	v_mov_b32_e32 v73, v19
	v_mov_b32_e32 v49, v17
	;; [unrolled: 1-line block ×3, first 2 shown]
	s_waitcnt lgkmcnt(0)
	v_pk_add_f32 v[18:19], v[22:23], v[72:73] neg_lo:[0,1] neg_hi:[0,1]
	v_pk_add_f32 v[16:17], v[20:21], v[48:49] neg_lo:[0,1] neg_hi:[0,1]
	;; [unrolled: 1-line block ×3, first 2 shown]
	v_pk_fma_f32 v[22:23], v[22:23], 2.0, v[18:19] op_sel_hi:[1,0,1] neg_lo:[0,0,1] neg_hi:[0,0,1]
	v_pk_fma_f32 v[20:21], v[20:21], 2.0, v[16:17] op_sel_hi:[1,0,1] neg_lo:[0,0,1] neg_hi:[0,0,1]
	;; [unrolled: 1-line block ×3, first 2 shown]
	s_waitcnt lgkmcnt(0)
	; wave barrier
	ds_write2_b64 v31, v[44:45], v[2:3] offset1:5
	ds_write2_b64 v83, v[20:21], v[16:17] offset1:5
	;; [unrolled: 1-line block ×4, first 2 shown]
	s_waitcnt lgkmcnt(0)
	; wave barrier
	s_waitcnt lgkmcnt(0)
	ds_read2_b64 v[0:3], v33 offset0:10 offset1:20
	ds_read2_b64 v[16:19], v33 offset0:30 offset1:40
	;; [unrolled: 1-line block ×3, first 2 shown]
	ds_read_b64 v[44:45], v79
	ds_read_b64 v[46:47], v33 offset:560
	v_mov_b32_e32 v48, v13
	s_waitcnt lgkmcnt(4)
	v_pk_mul_f32 v[48:49], v[48:49], v[0:1] op_sel_hi:[0,1]
	v_pk_fma_f32 v[50:51], v[12:13], v[0:1], v[48:49] op_sel:[0,0,1] op_sel_hi:[1,1,0]
	v_pk_fma_f32 v[0:1], v[12:13], v[0:1], v[48:49] op_sel:[0,0,1] op_sel_hi:[0,1,0] neg_lo:[0,0,1] neg_hi:[0,0,1]
	v_mov_b32_e32 v51, v1
	v_pk_mul_f32 v[0:1], v[60:61], v[2:3]
	v_mov_b32_e32 v24, s2
	v_pk_fma_f32 v[12:13], v[14:15], v[2:3], v[0:1] op_sel:[0,0,1] op_sel_hi:[1,1,0]
	v_pk_fma_f32 v[0:1], v[14:15], v[2:3], v[0:1] op_sel:[0,0,1] op_sel_hi:[1,1,0] neg_lo:[0,0,1] neg_hi:[0,0,1]
	v_mov_b32_e32 v25, s3
	v_mov_b32_e32 v13, v1
	s_waitcnt lgkmcnt(3)
	v_pk_mul_f32 v[0:1], v[62:63], v[16:17] op_sel_hi:[0,1]
	v_pk_fma_f32 v[2:3], v[8:9], v[16:17], v[0:1] op_sel:[0,0,1] op_sel_hi:[1,1,0]
	v_pk_fma_f32 v[0:1], v[8:9], v[16:17], v[0:1] op_sel:[0,0,1] op_sel_hi:[0,1,0] neg_lo:[0,0,1] neg_hi:[0,0,1]
	v_mov_b32_e32 v3, v1
	v_pk_mul_f32 v[0:1], v[58:59], v[18:19]
	s_nop 0
	v_pk_fma_f32 v[8:9], v[10:11], v[18:19], v[0:1] op_sel:[0,0,1] op_sel_hi:[1,1,0]
	v_pk_fma_f32 v[0:1], v[10:11], v[18:19], v[0:1] op_sel:[0,0,1] op_sel_hi:[1,1,0] neg_lo:[0,0,1] neg_hi:[0,0,1]
	s_nop 0
	v_mov_b32_e32 v0, v5
	v_mov_b32_e32 v9, v1
	s_waitcnt lgkmcnt(2)
	v_pk_mul_f32 v[0:1], v[0:1], v[20:21] op_sel_hi:[0,1]
	v_pk_fma_f32 v[10:11], v[4:5], v[20:21], v[0:1] op_sel:[0,0,1] op_sel_hi:[1,1,0]
	v_pk_fma_f32 v[0:1], v[4:5], v[20:21], v[0:1] op_sel:[0,0,1] op_sel_hi:[0,1,0] neg_lo:[0,0,1] neg_hi:[0,0,1]
	v_mov_b32_e32 v11, v1
	v_pk_mul_f32 v[0:1], v[54:55], v[22:23]
	v_pk_add_f32 v[10:11], v[50:51], v[10:11] neg_lo:[0,1] neg_hi:[0,1]
	v_pk_fma_f32 v[4:5], v[6:7], v[22:23], v[0:1] op_sel:[0,0,1] op_sel_hi:[1,1,0]
	v_pk_fma_f32 v[0:1], v[6:7], v[22:23], v[0:1] op_sel:[0,0,1] op_sel_hi:[1,1,0] neg_lo:[0,0,1] neg_hi:[0,0,1]
	v_pk_fma_f32 v[14:15], v[50:51], 2.0, v[10:11] op_sel_hi:[1,0,1] neg_lo:[0,0,1] neg_hi:[0,0,1]
	v_mov_b32_e32 v5, v1
	s_waitcnt lgkmcnt(0)
	v_pk_mul_f32 v[0:1], v[56:57], v[46:47] op_sel_hi:[0,1]
	v_pk_fma_f32 v[6:7], v[52:53], v[46:47], v[0:1] op_sel:[0,0,1] op_sel_hi:[1,1,0]
	v_pk_fma_f32 v[0:1], v[52:53], v[46:47], v[0:1] op_sel:[0,0,1] op_sel_hi:[0,1,0] neg_lo:[0,0,1] neg_hi:[0,0,1]
	v_mov_b32_e32 v7, v1
	v_pk_add_f32 v[0:1], v[44:45], v[8:9] neg_lo:[0,1] neg_hi:[0,1]
	v_pk_add_f32 v[4:5], v[12:13], v[4:5] neg_lo:[0,1] neg_hi:[0,1]
	;; [unrolled: 1-line block ×3, first 2 shown]
	v_pk_fma_f32 v[8:9], v[44:45], 2.0, v[0:1] op_sel_hi:[1,0,1] neg_lo:[0,0,1] neg_hi:[0,0,1]
	v_pk_fma_f32 v[12:13], v[12:13], 2.0, v[4:5] op_sel_hi:[1,0,1] neg_lo:[0,0,1] neg_hi:[0,0,1]
	;; [unrolled: 1-line block ×3, first 2 shown]
	v_pk_add_f32 v[12:13], v[8:9], v[12:13] neg_lo:[0,1] neg_hi:[0,1]
	v_pk_add_f32 v[2:3], v[14:15], v[2:3] neg_lo:[0,1] neg_hi:[0,1]
	v_pk_fma_f32 v[8:9], v[8:9], 2.0, v[12:13] op_sel_hi:[1,0,1] neg_lo:[0,0,1] neg_hi:[0,0,1]
	v_pk_fma_f32 v[14:15], v[14:15], 2.0, v[2:3] op_sel_hi:[1,0,1] neg_lo:[0,0,1] neg_hi:[0,0,1]
	s_nop 0
	v_pk_add_f32 v[14:15], v[8:9], v[14:15] neg_lo:[0,1] neg_hi:[0,1]
	s_nop 0
	v_pk_fma_f32 v[8:9], v[8:9], 2.0, v[14:15] op_sel_hi:[1,0,1] neg_lo:[0,0,1] neg_hi:[0,0,1]
	ds_write_b64 v79, v[8:9]
	v_pk_add_f32 v[8:9], v[0:1], v[4:5] op_sel:[0,1] op_sel_hi:[1,0]
	v_pk_add_f32 v[4:5], v[0:1], v[4:5] op_sel:[0,1] op_sel_hi:[1,0] neg_lo:[0,1] neg_hi:[0,1]
	s_nop 0
	v_mov_b32_e32 v9, v5
	v_pk_add_f32 v[4:5], v[10:11], v[6:7] op_sel:[0,1] op_sel_hi:[1,0]
	v_pk_add_f32 v[6:7], v[10:11], v[6:7] op_sel:[0,1] op_sel_hi:[1,0] neg_lo:[0,1] neg_hi:[0,1]
	v_pk_fma_f32 v[0:1], v[0:1], 2.0, v[8:9] op_sel_hi:[1,0,1] neg_lo:[0,0,1] neg_hi:[0,0,1]
	v_mov_b32_e32 v5, v7
	v_pk_fma_f32 v[6:7], v[10:11], 2.0, v[4:5] op_sel_hi:[1,0,1] neg_lo:[0,0,1] neg_hi:[0,0,1]
	s_nop 0
	v_pk_mul_f32 v[10:11], v[6:7], s[0:1] op_sel_hi:[1,0]
	v_pk_fma_f32 v[6:7], v[6:7], s[0:1], v[0:1] op_sel_hi:[1,0,1] neg_lo:[1,0,0] neg_hi:[1,0,0]
	s_nop 0
	v_pk_add_f32 v[16:17], v[6:7], v[10:11] op_sel:[0,1] op_sel_hi:[1,0]
	v_pk_add_f32 v[6:7], v[6:7], v[10:11] op_sel:[0,1] op_sel_hi:[1,0] neg_lo:[0,1] neg_hi:[0,1]
	s_nop 0
	v_mov_b32_e32 v17, v7
	v_pk_add_f32 v[6:7], v[12:13], v[2:3] op_sel:[0,1] op_sel_hi:[1,0]
	v_pk_add_f32 v[2:3], v[12:13], v[2:3] op_sel:[0,1] op_sel_hi:[1,0] neg_lo:[0,1] neg_hi:[0,1]
	v_pk_fma_f32 v[0:1], v[0:1], 2.0, v[16:17] op_sel_hi:[1,0,1] neg_lo:[0,0,1] neg_hi:[0,0,1]
	v_mov_b32_e32 v7, v3
	v_pk_fma_f32 v[2:3], v[12:13], 2.0, v[6:7] op_sel_hi:[1,0,1] neg_lo:[0,0,1] neg_hi:[0,0,1]
	ds_write2_b64 v33, v[0:1], v[2:3] offset0:10 offset1:20
	v_pk_mul_f32 v[0:1], v[4:5], s[0:1] op_sel_hi:[1,0]
	v_pk_fma_f32 v[2:3], v[4:5], s[0:1], v[8:9] op_sel_hi:[1,0,1]
	s_nop 0
	v_pk_add_f32 v[4:5], v[2:3], v[0:1] op_sel:[0,1] op_sel_hi:[1,0]
	v_pk_add_f32 v[0:1], v[2:3], v[0:1] op_sel:[0,1] op_sel_hi:[1,0] neg_lo:[0,1] neg_hi:[0,1]
	v_mov_b32_e32 v2, v27
	v_mov_b32_e32 v5, v1
	v_pk_fma_f32 v[0:1], v[8:9], 2.0, v[4:5] op_sel_hi:[1,0,1] neg_lo:[0,0,1] neg_hi:[0,0,1]
	ds_write2_b64 v33, v[0:1], v[14:15] offset0:30 offset1:40
	ds_write2_b64 v33, v[16:17], v[6:7] offset0:50 offset1:60
	ds_write_b64 v33, v[4:5] offset:560
	s_waitcnt lgkmcnt(0)
	; wave barrier
	s_waitcnt lgkmcnt(0)
	ds_read_b64 v[0:1], v79
	v_mad_u64_u32 v[2:3], s[0:1], s7, v32, v[2:3]
	v_mov_b32_e32 v27, v2
	s_mov_b32 s0, 0x9999999a
	s_waitcnt lgkmcnt(0)
	v_mul_f32_e32 v2, v43, v1
	v_fmac_f32_e32 v2, v42, v0
	v_mul_f32_e32 v0, v43, v0
	v_fma_f32 v0, v42, v1, -v0
	s_mov_b32 s1, 0x3f899999
	v_cvt_f64_f32_e32 v[0:1], v0
	v_cvt_f64_f32_e32 v[2:3], v2
	v_mul_f64 v[0:1], v[0:1], s[0:1]
	v_mul_f64 v[2:3], v[2:3], s[0:1]
	v_cvt_f32_f64_e32 v7, v[0:1]
	v_mad_u64_u32 v[0:1], s[2:3], s4, v30, 0
	v_cvt_f32_f64_e32 v6, v[2:3]
	v_mov_b32_e32 v2, v1
	v_mad_u64_u32 v[8:9], s[2:3], s5, v30, v[2:3]
	ds_read2_b64 v[2:5], v33 offset0:16 offset1:32
	v_mov_b32_e32 v1, v8
	v_lshl_add_u64 v[8:9], v[26:27], 3, v[24:25]
	v_lshl_add_u64 v[0:1], v[0:1], 3, v[8:9]
	global_store_dwordx2 v[0:1], v[6:7], off
	s_waitcnt lgkmcnt(0)
	v_mul_f32_e32 v6, v41, v3
	v_fmac_f32_e32 v6, v40, v2
	v_mul_f32_e32 v2, v41, v2
	v_fma_f32 v2, v40, v3, -v2
	v_cvt_f64_f32_e32 v[6:7], v6
	v_cvt_f64_f32_e32 v[2:3], v2
	v_mul_f64 v[6:7], v[6:7], s[0:1]
	v_mul_f64 v[2:3], v[2:3], s[0:1]
	v_cvt_f32_f64_e32 v6, v[6:7]
	v_cvt_f32_f64_e32 v7, v[2:3]
	v_mad_u64_u32 v[2:3], s[2:3], s4, v78, 0
	v_mov_b32_e32 v10, v3
	v_mad_u64_u32 v[10:11], s[2:3], s5, v78, v[10:11]
	v_mov_b32_e32 v3, v10
	v_lshl_add_u64 v[2:3], v[2:3], 3, v[8:9]
	global_store_dwordx2 v[2:3], v[6:7], off
	v_mul_f32_e32 v2, v39, v5
	v_fmac_f32_e32 v2, v38, v4
	v_cvt_f64_f32_e32 v[2:3], v2
	v_mul_f64 v[2:3], v[2:3], s[0:1]
	v_cvt_f32_f64_e32 v6, v[2:3]
	v_mul_f32_e32 v2, v39, v4
	v_fma_f32 v2, v38, v5, -v2
	v_cvt_f64_f32_e32 v[2:3], v2
	v_mul_f64 v[2:3], v[2:3], s[0:1]
	v_cvt_f32_f64_e32 v7, v[2:3]
	v_mad_u64_u32 v[10:11], s[2:3], s4, v76, 0
	ds_read2_b64 v[2:5], v33 offset0:48 offset1:64
	v_mov_b32_e32 v12, v11
	v_mad_u64_u32 v[12:13], s[2:3], s5, v76, v[12:13]
	v_mov_b32_e32 v11, v12
	v_lshl_add_u64 v[10:11], v[10:11], 3, v[8:9]
	global_store_dwordx2 v[10:11], v[6:7], off
	s_waitcnt lgkmcnt(0)
	v_mul_f32_e32 v6, v35, v3
	v_fmac_f32_e32 v6, v34, v2
	v_mul_f32_e32 v2, v35, v2
	v_fma_f32 v2, v34, v3, -v2
	v_cvt_f64_f32_e32 v[6:7], v6
	v_cvt_f64_f32_e32 v[2:3], v2
	v_mul_f64 v[6:7], v[6:7], s[0:1]
	v_mul_f64 v[2:3], v[2:3], s[0:1]
	v_cvt_f32_f64_e32 v6, v[6:7]
	v_cvt_f32_f64_e32 v7, v[2:3]
	v_mad_u64_u32 v[2:3], s[2:3], s4, v63, 0
	v_mov_b32_e32 v10, v3
	v_mad_u64_u32 v[10:11], s[2:3], s5, v63, v[10:11]
	v_mov_b32_e32 v3, v10
	v_lshl_add_u64 v[2:3], v[2:3], 3, v[8:9]
	global_store_dwordx2 v[2:3], v[6:7], off
	v_mul_f32_e32 v2, v37, v5
	v_fmac_f32_e32 v2, v36, v4
	v_cvt_f64_f32_e32 v[2:3], v2
	v_mul_f64 v[2:3], v[2:3], s[0:1]
	v_cvt_f32_f64_e32 v2, v[2:3]
	v_mul_f32_e32 v3, v37, v4
	v_fma_f32 v3, v36, v5, -v3
	v_cvt_f64_f32_e32 v[4:5], v3
	v_mul_f64 v[4:5], v[4:5], s[0:1]
	v_cvt_f32_f64_e32 v3, v[4:5]
	v_mad_u64_u32 v[4:5], s[2:3], s4, v77, 0
	v_mov_b32_e32 v6, v5
	v_mad_u64_u32 v[6:7], s[2:3], s5, v77, v[6:7]
	v_mov_b32_e32 v5, v6
	v_lshl_add_u64 v[4:5], v[4:5], 3, v[8:9]
	global_store_dwordx2 v[4:5], v[2:3], off
	s_and_b64 exec, exec, vcc
	s_cbranch_execz .LBB0_15
; %bb.14:
	global_load_dwordx2 v[10:11], v[28:29], off offset:80
	global_load_dwordx2 v[12:13], v[28:29], off offset:208
	;; [unrolled: 1-line block ×5, first 2 shown]
	ds_read2_b64 v[2:5], v33 offset0:10 offset1:26
	ds_read2_b64 v[6:9], v33 offset0:42 offset1:58
	ds_read_b64 v[20:21], v33 offset:592
	v_mov_b32_e32 v22, 0x50
	s_mul_i32 s6, s5, 0x50
	s_lshl_b64 s[2:3], s[4:5], 7
	v_mad_u64_u32 v[0:1], s[4:5], s4, v22, v[0:1]
	v_add_u32_e32 v1, s6, v1
	v_lshl_add_u64 v[22:23], v[0:1], 0, s[2:3]
	v_lshl_add_u64 v[24:25], v[22:23], 0, s[2:3]
	;; [unrolled: 1-line block ×4, first 2 shown]
	s_waitcnt vmcnt(4) lgkmcnt(2)
	v_mul_f32_e32 v30, v3, v11
	v_mul_f32_e32 v11, v2, v11
	s_waitcnt vmcnt(3)
	v_mul_f32_e32 v31, v5, v13
	v_mul_f32_e32 v13, v4, v13
	s_waitcnt vmcnt(2) lgkmcnt(1)
	v_mul_f32_e32 v32, v7, v15
	v_mul_f32_e32 v15, v6, v15
	s_waitcnt vmcnt(1)
	v_mul_f32_e32 v33, v9, v17
	v_mul_f32_e32 v17, v8, v17
	s_waitcnt vmcnt(0) lgkmcnt(0)
	v_mul_f32_e32 v34, v21, v19
	v_mul_f32_e32 v19, v20, v19
	v_fmac_f32_e32 v30, v2, v10
	v_fma_f32 v10, v10, v3, -v11
	v_fmac_f32_e32 v31, v4, v12
	v_fma_f32 v11, v12, v5, -v13
	;; [unrolled: 2-line block ×5, first 2 shown]
	v_cvt_f64_f32_e32 v[2:3], v30
	v_cvt_f64_f32_e32 v[4:5], v10
	;; [unrolled: 1-line block ×10, first 2 shown]
	v_mul_f64 v[2:3], v[2:3], s[0:1]
	v_mul_f64 v[4:5], v[4:5], s[0:1]
	;; [unrolled: 1-line block ×10, first 2 shown]
	v_cvt_f32_f64_e32 v2, v[2:3]
	v_cvt_f32_f64_e32 v3, v[4:5]
	;; [unrolled: 1-line block ×10, first 2 shown]
	global_store_dwordx2 v[0:1], v[2:3], off
	global_store_dwordx2 v[22:23], v[4:5], off
	;; [unrolled: 1-line block ×5, first 2 shown]
.LBB0_15:
	s_endpgm
	.section	.rodata,"a",@progbits
	.p2align	6, 0x0
	.amdhsa_kernel bluestein_single_fwd_len80_dim1_sp_op_CI_CI
		.amdhsa_group_segment_fixed_size 3840
		.amdhsa_private_segment_fixed_size 0
		.amdhsa_kernarg_size 104
		.amdhsa_user_sgpr_count 2
		.amdhsa_user_sgpr_dispatch_ptr 0
		.amdhsa_user_sgpr_queue_ptr 0
		.amdhsa_user_sgpr_kernarg_segment_ptr 1
		.amdhsa_user_sgpr_dispatch_id 0
		.amdhsa_user_sgpr_kernarg_preload_length 0
		.amdhsa_user_sgpr_kernarg_preload_offset 0
		.amdhsa_user_sgpr_private_segment_size 0
		.amdhsa_uses_dynamic_stack 0
		.amdhsa_enable_private_segment 0
		.amdhsa_system_sgpr_workgroup_id_x 1
		.amdhsa_system_sgpr_workgroup_id_y 0
		.amdhsa_system_sgpr_workgroup_id_z 0
		.amdhsa_system_sgpr_workgroup_info 0
		.amdhsa_system_vgpr_workitem_id 0
		.amdhsa_next_free_vgpr 102
		.amdhsa_next_free_sgpr 16
		.amdhsa_accum_offset 104
		.amdhsa_reserve_vcc 1
		.amdhsa_float_round_mode_32 0
		.amdhsa_float_round_mode_16_64 0
		.amdhsa_float_denorm_mode_32 3
		.amdhsa_float_denorm_mode_16_64 3
		.amdhsa_dx10_clamp 1
		.amdhsa_ieee_mode 1
		.amdhsa_fp16_overflow 0
		.amdhsa_tg_split 0
		.amdhsa_exception_fp_ieee_invalid_op 0
		.amdhsa_exception_fp_denorm_src 0
		.amdhsa_exception_fp_ieee_div_zero 0
		.amdhsa_exception_fp_ieee_overflow 0
		.amdhsa_exception_fp_ieee_underflow 0
		.amdhsa_exception_fp_ieee_inexact 0
		.amdhsa_exception_int_div_zero 0
	.end_amdhsa_kernel
	.text
.Lfunc_end0:
	.size	bluestein_single_fwd_len80_dim1_sp_op_CI_CI, .Lfunc_end0-bluestein_single_fwd_len80_dim1_sp_op_CI_CI
                                        ; -- End function
	.section	.AMDGPU.csdata,"",@progbits
; Kernel info:
; codeLenInByte = 6180
; NumSgprs: 22
; NumVgprs: 102
; NumAgprs: 0
; TotalNumVgprs: 102
; ScratchSize: 0
; MemoryBound: 0
; FloatMode: 240
; IeeeMode: 1
; LDSByteSize: 3840 bytes/workgroup (compile time only)
; SGPRBlocks: 2
; VGPRBlocks: 12
; NumSGPRsForWavesPerEU: 22
; NumVGPRsForWavesPerEU: 102
; AccumOffset: 104
; Occupancy: 4
; WaveLimiterHint : 1
; COMPUTE_PGM_RSRC2:SCRATCH_EN: 0
; COMPUTE_PGM_RSRC2:USER_SGPR: 2
; COMPUTE_PGM_RSRC2:TRAP_HANDLER: 0
; COMPUTE_PGM_RSRC2:TGID_X_EN: 1
; COMPUTE_PGM_RSRC2:TGID_Y_EN: 0
; COMPUTE_PGM_RSRC2:TGID_Z_EN: 0
; COMPUTE_PGM_RSRC2:TIDIG_COMP_CNT: 0
; COMPUTE_PGM_RSRC3_GFX90A:ACCUM_OFFSET: 25
; COMPUTE_PGM_RSRC3_GFX90A:TG_SPLIT: 0
	.text
	.p2alignl 6, 3212836864
	.fill 256, 4, 3212836864
	.type	__hip_cuid_8cfdd0b5cc918aa4,@object ; @__hip_cuid_8cfdd0b5cc918aa4
	.section	.bss,"aw",@nobits
	.globl	__hip_cuid_8cfdd0b5cc918aa4
__hip_cuid_8cfdd0b5cc918aa4:
	.byte	0                               ; 0x0
	.size	__hip_cuid_8cfdd0b5cc918aa4, 1

	.ident	"AMD clang version 19.0.0git (https://github.com/RadeonOpenCompute/llvm-project roc-6.4.0 25133 c7fe45cf4b819c5991fe208aaa96edf142730f1d)"
	.section	".note.GNU-stack","",@progbits
	.addrsig
	.addrsig_sym __hip_cuid_8cfdd0b5cc918aa4
	.amdgpu_metadata
---
amdhsa.kernels:
  - .agpr_count:     0
    .args:
      - .actual_access:  read_only
        .address_space:  global
        .offset:         0
        .size:           8
        .value_kind:     global_buffer
      - .actual_access:  read_only
        .address_space:  global
        .offset:         8
        .size:           8
        .value_kind:     global_buffer
      - .actual_access:  read_only
        .address_space:  global
        .offset:         16
        .size:           8
        .value_kind:     global_buffer
      - .actual_access:  read_only
        .address_space:  global
        .offset:         24
        .size:           8
        .value_kind:     global_buffer
      - .actual_access:  read_only
        .address_space:  global
        .offset:         32
        .size:           8
        .value_kind:     global_buffer
      - .offset:         40
        .size:           8
        .value_kind:     by_value
      - .address_space:  global
        .offset:         48
        .size:           8
        .value_kind:     global_buffer
      - .address_space:  global
        .offset:         56
        .size:           8
        .value_kind:     global_buffer
      - .address_space:  global
        .offset:         64
        .size:           8
        .value_kind:     global_buffer
      - .address_space:  global
        .offset:         72
        .size:           8
        .value_kind:     global_buffer
      - .offset:         80
        .size:           4
        .value_kind:     by_value
      - .address_space:  global
        .offset:         88
        .size:           8
        .value_kind:     global_buffer
      - .address_space:  global
        .offset:         96
        .size:           8
        .value_kind:     global_buffer
    .group_segment_fixed_size: 3840
    .kernarg_segment_align: 8
    .kernarg_segment_size: 104
    .language:       OpenCL C
    .language_version:
      - 2
      - 0
    .max_flat_workgroup_size: 60
    .name:           bluestein_single_fwd_len80_dim1_sp_op_CI_CI
    .private_segment_fixed_size: 0
    .sgpr_count:     22
    .sgpr_spill_count: 0
    .symbol:         bluestein_single_fwd_len80_dim1_sp_op_CI_CI.kd
    .uniform_work_group_size: 1
    .uses_dynamic_stack: false
    .vgpr_count:     102
    .vgpr_spill_count: 0
    .wavefront_size: 64
amdhsa.target:   amdgcn-amd-amdhsa--gfx950
amdhsa.version:
  - 1
  - 2
...

	.end_amdgpu_metadata
